;; amdgpu-corpus repo=zjin-lcf/HeCBench kind=compiled arch=gfx90a opt=O3
	.text
	.amdgcn_target "amdgcn-amd-amdhsa--gfx90a"
	.amdhsa_code_object_version 6
	.protected	_Z9boxmullerPfi         ; -- Begin function _Z9boxmullerPfi
	.globl	_Z9boxmullerPfi
	.p2align	8
	.type	_Z9boxmullerPfi,@function
_Z9boxmullerPfi:                        ; @_Z9boxmullerPfi
; %bb.0:
	s_load_dword s12, s[4:5], 0x8
	s_waitcnt lgkmcnt(0)
	s_cmp_lt_i32 s12, 1
	s_cbranch_scc1 .LBB0_11
; %bb.1:
	s_load_dword s0, s[4:5], 0x1c
	s_load_dwordx2 s[8:9], s[4:5], 0x0
	s_mov_b32 s13, 0
	s_brev_b32 s14, 18
	s_mov_b32 s15, 0xfe5163ab
	s_waitcnt lgkmcnt(0)
	s_and_b32 s0, s0, 0xffff
	s_mul_i32 s6, s6, s0
	v_mov_b32_e32 v8, s9
	v_add_u32_e32 v0, s6, v0
	s_mov_b32 s9, 0x800000
	s_mov_b32 s16, 0x3c439041
	;; [unrolled: 1-line block ×13, first 2 shown]
	v_mov_b32_e32 v9, 0x260
	v_mov_b32_e32 v10, 0xbe2aaa9d
	;; [unrolled: 1-line block ×4, first 2 shown]
	s_movk_i32 s28, 0x1f8
	v_mov_b32_e32 v3, 0
	v_not_b32_e32 v13, 63
	v_not_b32_e32 v14, 31
	v_mov_b32_e32 v15, 0x4f800000
	v_mov_b32_e32 v16, 0x41b17218
	;; [unrolled: 1-line block ×3, first 2 shown]
	s_branch .LBB0_3
.LBB0_2:                                ;   in Loop: Header=BB0_3 Depth=1
	s_or_b64 exec, exec, s[0:1]
	v_mul_f32_e32 v7, v6, v6
	v_mov_b32_e32 v20, 0x3c0881c4
	v_fmac_f32_e32 v20, 0xb94c1982, v7
	v_fma_f32 v20, v7, v20, v10
	v_mul_f32_e32 v20, v7, v20
	v_fmac_f32_e32 v6, v6, v20
	v_mov_b32_e32 v20, 0xbab64f3b
	v_fmac_f32_e32 v20, 0x37d75334, v7
	v_fma_f32 v20, v7, v20, v11
	v_fma_f32 v20, v7, v20, v12
	v_fma_f32 v7, v7, v20, 1.0
	v_and_b32_e32 v20, 1, v2
	v_lshlrev_b32_e32 v2, 30, v2
	v_cmp_eq_u32_e64 s[0:1], 0, v20
	v_and_b32_e32 v2, 0x80000000, v2
	v_xor_b32_e32 v1, v18, v1
	v_cndmask_b32_e64 v6, v7, v6, s[0:1]
	v_xor_b32_e32 v1, v1, v2
	v_xor_b32_e32 v1, v1, v6
	v_cndmask_b32_e32 v1, v17, v1, vcc
	s_add_i32 s13, s13, 2
	v_mul_f32_e32 v1, v19, v1
	s_cmp_ge_i32 s13, s12
	v_add_u32_e32 v0, 0x2000, v0
	global_store_dword v[4:5], v1, off
	s_cbranch_scc1 .LBB0_11
.LBB0_3:                                ; =>This Inner Loop Header: Depth=1
	v_add_u32_e32 v4, 0x1000, v0
	v_ashrrev_i32_e32 v5, 31, v4
	v_lshlrev_b64 v[4:5], 2, v[4:5]
	v_ashrrev_i32_e32 v1, 31, v0
	v_add_co_u32_e32 v4, vcc, s8, v4
	v_lshlrev_b64 v[6:7], 2, v[0:1]
	v_addc_co_u32_e32 v5, vcc, v8, v5, vcc
	global_load_dword v1, v[4:5], off
	v_add_co_u32_e32 v6, vcc, s8, v6
	v_addc_co_u32_e32 v7, vcc, v8, v7, vcc
	global_load_dword v19, v[6:7], off
                                        ; implicit-def: $vgpr2
                                        ; implicit-def: $vgpr20
	s_waitcnt vmcnt(1)
	v_mul_f32_e32 v1, 0x40c90fdb, v1
	v_and_b32_e32 v18, 0x7fffffff, v1
	v_cmp_nlt_f32_e64 s[6:7], |v1|, s14
	s_and_saveexec_b64 s[0:1], s[6:7]
	s_xor_b64 s[10:11], exec, s[0:1]
	s_cbranch_execz .LBB0_5
; %bb.4:                                ;   in Loop: Header=BB0_3 Depth=1
	v_lshrrev_b32_e32 v2, 23, v18
	v_add_u32_e32 v2, 0xffffff88, v2
	v_cmp_lt_u32_e32 vcc, 63, v2
	v_cndmask_b32_e32 v20, 0, v13, vcc
	v_add_u32_e32 v2, v20, v2
	v_cmp_lt_u32_e64 s[0:1], 31, v2
	v_cndmask_b32_e64 v20, 0, v14, s[0:1]
	v_add_u32_e32 v2, v20, v2
	v_cmp_lt_u32_e64 s[2:3], 31, v2
	v_cndmask_b32_e64 v20, 0, v14, s[2:3]
	v_add_u32_e32 v34, v20, v2
	v_and_b32_e32 v2, 0x7fffff, v18
	v_or_b32_e32 v32, 0x800000, v2
	v_mad_u64_u32 v[20:21], s[4:5], v32, s15, 0
	v_mov_b32_e32 v2, v21
	v_mad_u64_u32 v[22:23], s[4:5], v32, s16, v[2:3]
	v_mov_b32_e32 v2, v23
	;; [unrolled: 2-line block ×6, first 2 shown]
	v_mad_u64_u32 v[32:33], s[4:5], v32, s21, v[2:3]
	v_cndmask_b32_e32 v21, v30, v26, vcc
	v_cndmask_b32_e32 v2, v32, v28, vcc
	;; [unrolled: 1-line block ×3, first 2 shown]
	v_cndmask_b32_e64 v23, v2, v21, s[0:1]
	v_cndmask_b32_e64 v2, v25, v2, s[0:1]
	v_cndmask_b32_e32 v25, v28, v24, vcc
	v_cndmask_b32_e64 v21, v21, v25, s[0:1]
	v_cndmask_b32_e32 v22, v26, v22, vcc
	v_cndmask_b32_e64 v2, v2, v23, s[2:3]
	v_cndmask_b32_e64 v23, v23, v21, s[2:3]
	v_sub_u32_e32 v27, 32, v34
	v_cndmask_b32_e64 v25, v25, v22, s[0:1]
	v_alignbit_b32 v28, v2, v23, v27
	v_cmp_eq_u32_e64 s[4:5], 0, v34
	v_cndmask_b32_e64 v21, v21, v25, s[2:3]
	v_cndmask_b32_e32 v20, v24, v20, vcc
	v_cndmask_b32_e64 v2, v28, v2, s[4:5]
	v_alignbit_b32 v26, v23, v21, v27
	v_cndmask_b32_e64 v20, v22, v20, s[0:1]
	v_cndmask_b32_e64 v23, v26, v23, s[4:5]
	v_bfe_u32 v29, v2, 29, 1
	v_cndmask_b32_e64 v20, v25, v20, s[2:3]
	v_alignbit_b32 v26, v2, v23, 30
	v_sub_u32_e32 v30, 0, v29
	v_alignbit_b32 v22, v21, v20, v27
	v_xor_b32_e32 v31, v26, v30
	v_cndmask_b32_e64 v21, v22, v21, s[4:5]
	v_alignbit_b32 v22, v23, v21, 30
	v_ffbh_u32_e32 v23, v31
	v_add_u32_e32 v23, 1, v23
	v_cmp_ne_u32_e32 vcc, v26, v30
	v_cndmask_b32_e32 v23, 33, v23, vcc
	v_alignbit_b32 v20, v21, v20, 30
	v_xor_b32_e32 v22, v22, v30
	v_sub_u32_e32 v24, 32, v23
	v_xor_b32_e32 v20, v20, v30
	v_alignbit_b32 v25, v31, v22, v24
	v_alignbit_b32 v20, v22, v20, v24
	;; [unrolled: 1-line block ×3, first 2 shown]
	v_ffbh_u32_e32 v22, v21
	v_min_u32_e32 v22, 32, v22
	v_lshrrev_b32_e32 v28, 29, v2
	v_sub_u32_e32 v24, 31, v22
	v_alignbit_b32 v20, v21, v20, v24
	v_lshlrev_b32_e32 v21, 31, v28
	v_or_b32_e32 v24, 0x33800000, v21
	v_add_lshl_u32 v22, v22, v23, 23
	v_lshrrev_b32_e32 v20, 9, v20
	v_sub_u32_e32 v22, v24, v22
	v_or_b32_e32 v20, v22, v20
	v_alignbit_b32 v22, v23, v25, 9
	v_or_b32_e32 v21, v22, v21
	v_xor_b32_e32 v21, 1.0, v21
	v_mul_f32_e32 v22, 0x3fc90fda, v21
	v_fma_f32 v23, v21, s22, -v22
	v_fmac_f32_e32 v23, 0x33a22168, v21
	v_fmac_f32_e32 v23, 0x3fc90fda, v20
	v_lshrrev_b32_e32 v2, 30, v2
	v_add_f32_e32 v20, v22, v23
	v_add_u32_e32 v2, v29, v2
.LBB0_5:                                ;   in Loop: Header=BB0_3 Depth=1
	s_andn2_saveexec_b64 s[0:1], s[10:11]
; %bb.6:                                ;   in Loop: Header=BB0_3 Depth=1
	v_mul_f32_e64 v2, |v1|, s23
	v_rndne_f32_e32 v21, v2
	v_cvt_i32_f32_e32 v2, v21
	v_fma_f32 v20, v21, s24, |v1|
	v_fmac_f32_e32 v20, 0xb3a22168, v21
	v_fmac_f32_e32 v20, 0xa7c234c4, v21
; %bb.7:                                ;   in Loop: Header=BB0_3 Depth=1
	s_or_b64 exec, exec, s[0:1]
	s_waitcnt vmcnt(0)
	v_cmp_gt_f32_e32 vcc, s9, v19
	v_cndmask_b32_e32 v21, 1.0, v15, vcc
	v_mul_f32_e32 v19, v19, v21
	v_log_f32_e32 v19, v19
	v_cndmask_b32_e32 v21, 0, v16, vcc
	v_mul_f32_e32 v22, 0x3f317217, v19
	v_fma_f32 v23, v19, s25, -v22
	v_fmac_f32_e32 v23, 0x3377d1cf, v19
	v_add_f32_e32 v22, v22, v23
	v_cmp_lt_f32_e64 vcc, |v19|, s26
	v_cndmask_b32_e32 v19, v19, v22, vcc
	v_sub_f32_e32 v19, v19, v21
	v_mul_f32_e32 v19, -2.0, v19
	v_mul_f32_e32 v21, 0x4f800000, v19
	v_cmp_gt_f32_e32 vcc, s27, v19
	v_cndmask_b32_e32 v19, v19, v21, vcc
	v_sqrt_f32_e32 v21, v19
	v_add_u32_e32 v22, -1, v21
	v_fma_f32 v24, -v22, v21, v19
	v_add_u32_e32 v23, 1, v21
	v_cmp_ge_f32_e64 s[0:1], 0, v24
	v_cndmask_b32_e64 v22, v21, v22, s[0:1]
	v_fma_f32 v21, -v23, v21, v19
	v_cmp_lt_f32_e64 s[0:1], 0, v21
	v_cndmask_b32_e64 v21, v22, v23, s[0:1]
	v_mul_f32_e32 v22, 0x37800000, v21
	v_cndmask_b32_e32 v21, v21, v22, vcc
	v_cmp_class_f32_e32 vcc, v19, v9
	v_cndmask_b32_e32 v19, v21, v19, vcc
	v_mul_f32_e32 v21, v20, v20
	v_mov_b32_e32 v22, 0x3c0881c4
	v_fmac_f32_e32 v22, 0xb94c1982, v21
	v_fma_f32 v22, v21, v22, v10
	v_mul_f32_e32 v22, v21, v22
	v_fmac_f32_e32 v20, v20, v22
	v_mov_b32_e32 v22, 0xbab64f3b
	v_fmac_f32_e32 v22, 0x37d75334, v21
	v_fma_f32 v22, v21, v22, v11
	v_fma_f32 v22, v21, v22, v12
	v_fma_f32 v21, v21, v22, 1.0
	v_and_b32_e32 v22, 1, v2
	v_cmp_eq_u32_e32 vcc, 0, v22
	v_lshlrev_b32_e32 v2, 30, v2
	v_cndmask_b32_e64 v20, -v20, v21, vcc
	v_and_b32_e32 v2, 0x80000000, v2
	v_xor_b32_e32 v2, v2, v20
	v_cmp_class_f32_e64 vcc, v1, s28
	v_cndmask_b32_e32 v2, v17, v2, vcc
	v_mul_f32_e32 v2, v19, v2
	global_store_dword v[6:7], v2, off
                                        ; implicit-def: $vgpr2
                                        ; implicit-def: $vgpr6
	s_and_saveexec_b64 s[0:1], s[6:7]
	s_xor_b64 s[10:11], exec, s[0:1]
	s_cbranch_execz .LBB0_9
; %bb.8:                                ;   in Loop: Header=BB0_3 Depth=1
	v_lshrrev_b32_e32 v2, 23, v18
	v_add_u32_e32 v2, 0xffffff88, v2
	v_cmp_lt_u32_e64 s[0:1], 63, v2
	v_cndmask_b32_e64 v6, 0, v13, s[0:1]
	v_add_u32_e32 v2, v6, v2
	v_cmp_lt_u32_e64 s[2:3], 31, v2
	v_cndmask_b32_e64 v6, 0, v14, s[2:3]
	;; [unrolled: 3-line block ×3, first 2 shown]
	v_add_u32_e32 v32, v6, v2
	v_and_b32_e32 v2, 0x7fffff, v18
	v_or_b32_e32 v30, 0x800000, v2
	v_mad_u64_u32 v[6:7], s[6:7], v30, s15, 0
	v_mov_b32_e32 v2, v7
	v_mad_u64_u32 v[20:21], s[6:7], v30, s16, v[2:3]
	v_mov_b32_e32 v2, v21
	;; [unrolled: 2-line block ×6, first 2 shown]
	v_mad_u64_u32 v[30:31], s[6:7], v30, s21, v[2:3]
	v_cndmask_b32_e64 v7, v28, v24, s[0:1]
	v_cndmask_b32_e64 v2, v30, v26, s[0:1]
	;; [unrolled: 1-line block ×10, first 2 shown]
	v_sub_u32_e32 v25, 32, v32
	v_cndmask_b32_e64 v23, v23, v20, s[2:3]
	v_alignbit_b32 v26, v2, v21, v25
	v_cmp_eq_u32_e64 s[6:7], 0, v32
	v_cndmask_b32_e64 v7, v7, v23, s[4:5]
	v_cndmask_b32_e64 v6, v22, v6, s[0:1]
	;; [unrolled: 1-line block ×3, first 2 shown]
	v_alignbit_b32 v24, v21, v7, v25
	v_cndmask_b32_e64 v6, v20, v6, s[2:3]
	v_cndmask_b32_e64 v21, v24, v21, s[6:7]
	v_bfe_u32 v27, v2, 29, 1
	v_cndmask_b32_e64 v6, v23, v6, s[4:5]
	v_alignbit_b32 v24, v2, v21, 30
	v_sub_u32_e32 v28, 0, v27
	v_alignbit_b32 v20, v7, v6, v25
	v_xor_b32_e32 v29, v24, v28
	v_cndmask_b32_e64 v7, v20, v7, s[6:7]
	v_alignbit_b32 v20, v21, v7, 30
	v_ffbh_u32_e32 v21, v29
	v_add_u32_e32 v21, 1, v21
	v_cmp_ne_u32_e64 s[0:1], v24, v28
	v_cndmask_b32_e64 v21, 33, v21, s[0:1]
	v_alignbit_b32 v6, v7, v6, 30
	v_xor_b32_e32 v20, v20, v28
	v_sub_u32_e32 v22, 32, v21
	v_xor_b32_e32 v6, v6, v28
	v_alignbit_b32 v23, v29, v20, v22
	v_alignbit_b32 v6, v20, v6, v22
	;; [unrolled: 1-line block ×3, first 2 shown]
	v_ffbh_u32_e32 v20, v7
	v_min_u32_e32 v20, 32, v20
	v_lshrrev_b32_e32 v26, 29, v2
	v_sub_u32_e32 v22, 31, v20
	v_alignbit_b32 v6, v7, v6, v22
	v_lshlrev_b32_e32 v7, 31, v26
	v_or_b32_e32 v22, 0x33800000, v7
	v_add_lshl_u32 v20, v20, v21, 23
	v_lshrrev_b32_e32 v6, 9, v6
	v_sub_u32_e32 v20, v22, v20
	v_or_b32_e32 v6, v20, v6
	v_alignbit_b32 v20, v21, v23, 9
	v_or_b32_e32 v7, v20, v7
	v_xor_b32_e32 v7, 1.0, v7
	v_mul_f32_e32 v20, 0x3fc90fda, v7
	v_fma_f32 v21, v7, s22, -v20
	v_fmac_f32_e32 v21, 0x33a22168, v7
	v_fmac_f32_e32 v21, 0x3fc90fda, v6
	v_lshrrev_b32_e32 v2, 30, v2
	v_add_f32_e32 v6, v20, v21
	v_add_u32_e32 v2, v27, v2
.LBB0_9:                                ;   in Loop: Header=BB0_3 Depth=1
	s_andn2_saveexec_b64 s[0:1], s[10:11]
	s_cbranch_execz .LBB0_2
; %bb.10:                               ;   in Loop: Header=BB0_3 Depth=1
	v_mul_f32_e64 v2, |v1|, s23
	v_rndne_f32_e32 v7, v2
	v_cvt_i32_f32_e32 v2, v7
	v_fma_f32 v6, v7, s24, |v1|
	v_fmac_f32_e32 v6, 0xb3a22168, v7
	v_fmac_f32_e32 v6, 0xa7c234c4, v7
	s_branch .LBB0_2
.LBB0_11:
	s_endpgm
	.section	.rodata,"a",@progbits
	.p2align	6, 0x0
	.amdhsa_kernel _Z9boxmullerPfi
		.amdhsa_group_segment_fixed_size 0
		.amdhsa_private_segment_fixed_size 0
		.amdhsa_kernarg_size 272
		.amdhsa_user_sgpr_count 6
		.amdhsa_user_sgpr_private_segment_buffer 1
		.amdhsa_user_sgpr_dispatch_ptr 0
		.amdhsa_user_sgpr_queue_ptr 0
		.amdhsa_user_sgpr_kernarg_segment_ptr 1
		.amdhsa_user_sgpr_dispatch_id 0
		.amdhsa_user_sgpr_flat_scratch_init 0
		.amdhsa_user_sgpr_kernarg_preload_length 0
		.amdhsa_user_sgpr_kernarg_preload_offset 0
		.amdhsa_user_sgpr_private_segment_size 0
		.amdhsa_uses_dynamic_stack 0
		.amdhsa_system_sgpr_private_segment_wavefront_offset 0
		.amdhsa_system_sgpr_workgroup_id_x 1
		.amdhsa_system_sgpr_workgroup_id_y 0
		.amdhsa_system_sgpr_workgroup_id_z 0
		.amdhsa_system_sgpr_workgroup_info 0
		.amdhsa_system_vgpr_workitem_id 0
		.amdhsa_next_free_vgpr 35
		.amdhsa_next_free_sgpr 29
		.amdhsa_accum_offset 36
		.amdhsa_reserve_vcc 1
		.amdhsa_reserve_flat_scratch 0
		.amdhsa_float_round_mode_32 0
		.amdhsa_float_round_mode_16_64 0
		.amdhsa_float_denorm_mode_32 3
		.amdhsa_float_denorm_mode_16_64 3
		.amdhsa_dx10_clamp 1
		.amdhsa_ieee_mode 1
		.amdhsa_fp16_overflow 0
		.amdhsa_tg_split 0
		.amdhsa_exception_fp_ieee_invalid_op 0
		.amdhsa_exception_fp_denorm_src 0
		.amdhsa_exception_fp_ieee_div_zero 0
		.amdhsa_exception_fp_ieee_overflow 0
		.amdhsa_exception_fp_ieee_underflow 0
		.amdhsa_exception_fp_ieee_inexact 0
		.amdhsa_exception_int_div_zero 0
	.end_amdhsa_kernel
	.text
.Lfunc_end0:
	.size	_Z9boxmullerPfi, .Lfunc_end0-_Z9boxmullerPfi
                                        ; -- End function
	.section	.AMDGPU.csdata,"",@progbits
; Kernel info:
; codeLenInByte = 2024
; NumSgprs: 33
; NumVgprs: 35
; NumAgprs: 0
; TotalNumVgprs: 35
; ScratchSize: 0
; MemoryBound: 0
; FloatMode: 240
; IeeeMode: 1
; LDSByteSize: 0 bytes/workgroup (compile time only)
; SGPRBlocks: 4
; VGPRBlocks: 4
; NumSGPRsForWavesPerEU: 33
; NumVGPRsForWavesPerEU: 35
; AccumOffset: 36
; Occupancy: 8
; WaveLimiterHint : 0
; COMPUTE_PGM_RSRC2:SCRATCH_EN: 0
; COMPUTE_PGM_RSRC2:USER_SGPR: 6
; COMPUTE_PGM_RSRC2:TRAP_HANDLER: 0
; COMPUTE_PGM_RSRC2:TGID_X_EN: 1
; COMPUTE_PGM_RSRC2:TGID_Y_EN: 0
; COMPUTE_PGM_RSRC2:TGID_Z_EN: 0
; COMPUTE_PGM_RSRC2:TIDIG_COMP_CNT: 0
; COMPUTE_PGM_RSRC3_GFX90A:ACCUM_OFFSET: 8
; COMPUTE_PGM_RSRC3_GFX90A:TG_SPLIT: 0
	.text
	.protected	_Z2mtPK18mt_struct_strippedPfi ; -- Begin function _Z2mtPK18mt_struct_strippedPfi
	.globl	_Z2mtPK18mt_struct_strippedPfi
	.p2align	8
	.type	_Z2mtPK18mt_struct_strippedPfi,@function
_Z2mtPK18mt_struct_strippedPfi:         ; @_Z2mtPK18mt_struct_strippedPfi
; %bb.0:
	s_load_dword s7, s[4:5], 0x24
	s_load_dwordx4 s[12:15], s[4:5], 0x0
	s_load_dword s6, s[4:5], 0x10
	s_add_u32 s0, s0, s9
	s_addc_u32 s1, s1, 0
	s_waitcnt lgkmcnt(0)
	s_and_b32 s4, s7, 0xffff
	s_mul_i32 s8, s8, s4
	v_add_u32_e32 v4, s8, v0
	v_ashrrev_i32_e32 v5, 31, v4
	v_lshlrev_b64 v[0:1], 4, v[4:5]
	v_mov_b32_e32 v2, s13
	v_add_co_u32_e32 v0, vcc, s12, v0
	v_addc_co_u32_e32 v1, vcc, v2, v1, vcc
	global_load_dwordx4 v[0:3], v[0:1], off
	s_mov_b32 s7, 0x6c078965
	s_cmp_lt_i32 s6, 1
	s_waitcnt vmcnt(0)
	v_lshrrev_b32_e32 v5, 30, v3
	v_xor_b32_e32 v5, v5, v3
	v_mad_u64_u32 v[6:7], s[4:5], v5, s7, 1
	v_lshrrev_b32_e32 v5, 30, v6
	v_xor_b32_e32 v5, v5, v6
	buffer_store_dword v6, off, s[0:3], 0 offset:4
	v_mad_u64_u32 v[6:7], s[4:5], v5, s7, 2
	v_lshrrev_b32_e32 v5, 30, v6
	v_xor_b32_e32 v5, v5, v6
	buffer_store_dword v6, off, s[0:3], 0 offset:8
	;; [unrolled: 4-line block ×17, first 2 shown]
	v_mad_u64_u32 v[6:7], s[4:5], v5, s7, 18
	buffer_store_dword v3, off, s[0:3], 0
	buffer_store_dword v6, off, s[0:3], 0 offset:72
	s_cbranch_scc1 .LBB1_3
; %bb.1:
	s_mov_b32 s4, 0
	v_mov_b32_e32 v6, 0
	v_mov_b32_e32 v7, s15
.LBB1_2:                                ; =>This Inner Loop Header: Depth=1
	s_cmp_gt_i32 s4, 17
	s_cselect_b32 s5, 0xffffffee, 1
	s_add_i32 s5, s5, s4
	s_cmp_gt_i32 s4, 9
	s_cselect_b32 s7, -10, 9
	s_lshl_b32 s8, s5, 2
	s_add_i32 s7, s7, s4
	v_add_u32_e32 v5, s8, v6
	s_lshl_b32 s7, s7, 2
	buffer_load_dword v10, v5, s[0:3], 0 offen
	v_add_u32_e32 v5, s7, v6
	buffer_load_dword v11, v5, s[0:3], 0 offen
	v_lshrrev_b32_e32 v3, 1, v3
	v_ashrrev_i32_e32 v5, 31, v4
	s_lshl_b32 s4, s4, 2
	v_lshlrev_b64 v[8:9], 2, v[4:5]
	v_add_u32_e32 v5, s4, v6
	v_add_co_u32_e32 v8, vcc, s14, v8
	s_add_i32 s6, s6, -1
	v_add_u32_e32 v4, 0x1000, v4
	v_addc_co_u32_e32 v9, vcc, v7, v9, vcc
	s_mov_b32 s4, s5
	s_cmp_lg_u32 s6, 0
	s_waitcnt vmcnt(1)
	v_bfe_i32 v12, v10, 0, 1
	v_and_b32_e32 v12, v12, v0
	s_waitcnt vmcnt(0)
	v_xor_b32_e32 v3, v11, v3
	v_xor_b32_e32 v11, v3, v12
	v_lshrrev_b32_e32 v3, 12, v11
	v_xor_b32_e32 v3, v3, v11
	v_lshlrev_b32_e32 v12, 7, v3
	v_and_b32_e32 v12, v12, v1
	v_xor_b32_e32 v3, v12, v3
	v_lshlrev_b32_e32 v12, 15, v3
	v_and_b32_e32 v12, v12, v2
	v_xor_b32_e32 v3, v12, v3
	v_lshrrev_b32_e32 v12, 18, v3
	v_xor_b32_e32 v3, v12, v3
	v_cvt_f32_u32_e32 v12, v3
	buffer_store_dword v11, v5, s[0:3], 0 offen
	v_mov_b32_e32 v3, v10
	v_add_f32_e32 v5, 1.0, v12
	v_mul_f32_e32 v5, 0x2f800000, v5
	global_store_dword v[8:9], v5, off
	s_cbranch_scc1 .LBB1_2
.LBB1_3:
	s_endpgm
	.section	.rodata,"a",@progbits
	.p2align	6, 0x0
	.amdhsa_kernel _Z2mtPK18mt_struct_strippedPfi
		.amdhsa_group_segment_fixed_size 0
		.amdhsa_private_segment_fixed_size 80
		.amdhsa_kernarg_size 280
		.amdhsa_user_sgpr_count 8
		.amdhsa_user_sgpr_private_segment_buffer 1
		.amdhsa_user_sgpr_dispatch_ptr 0
		.amdhsa_user_sgpr_queue_ptr 0
		.amdhsa_user_sgpr_kernarg_segment_ptr 1
		.amdhsa_user_sgpr_dispatch_id 0
		.amdhsa_user_sgpr_flat_scratch_init 1
		.amdhsa_user_sgpr_kernarg_preload_length 0
		.amdhsa_user_sgpr_kernarg_preload_offset 0
		.amdhsa_user_sgpr_private_segment_size 0
		.amdhsa_uses_dynamic_stack 0
		.amdhsa_system_sgpr_private_segment_wavefront_offset 1
		.amdhsa_system_sgpr_workgroup_id_x 1
		.amdhsa_system_sgpr_workgroup_id_y 0
		.amdhsa_system_sgpr_workgroup_id_z 0
		.amdhsa_system_sgpr_workgroup_info 0
		.amdhsa_system_vgpr_workitem_id 0
		.amdhsa_next_free_vgpr 13
		.amdhsa_next_free_sgpr 16
		.amdhsa_accum_offset 16
		.amdhsa_reserve_vcc 1
		.amdhsa_reserve_flat_scratch 0
		.amdhsa_float_round_mode_32 0
		.amdhsa_float_round_mode_16_64 0
		.amdhsa_float_denorm_mode_32 3
		.amdhsa_float_denorm_mode_16_64 3
		.amdhsa_dx10_clamp 1
		.amdhsa_ieee_mode 1
		.amdhsa_fp16_overflow 0
		.amdhsa_tg_split 0
		.amdhsa_exception_fp_ieee_invalid_op 0
		.amdhsa_exception_fp_denorm_src 0
		.amdhsa_exception_fp_ieee_div_zero 0
		.amdhsa_exception_fp_ieee_overflow 0
		.amdhsa_exception_fp_ieee_underflow 0
		.amdhsa_exception_fp_ieee_inexact 0
		.amdhsa_exception_int_div_zero 0
	.end_amdhsa_kernel
	.text
.Lfunc_end1:
	.size	_Z2mtPK18mt_struct_strippedPfi, .Lfunc_end1-_Z2mtPK18mt_struct_strippedPfi
                                        ; -- End function
	.section	.AMDGPU.csdata,"",@progbits
; Kernel info:
; codeLenInByte = 780
; NumSgprs: 20
; NumVgprs: 13
; NumAgprs: 0
; TotalNumVgprs: 13
; ScratchSize: 80
; MemoryBound: 0
; FloatMode: 240
; IeeeMode: 1
; LDSByteSize: 0 bytes/workgroup (compile time only)
; SGPRBlocks: 2
; VGPRBlocks: 1
; NumSGPRsForWavesPerEU: 20
; NumVGPRsForWavesPerEU: 13
; AccumOffset: 16
; Occupancy: 8
; WaveLimiterHint : 0
; COMPUTE_PGM_RSRC2:SCRATCH_EN: 1
; COMPUTE_PGM_RSRC2:USER_SGPR: 8
; COMPUTE_PGM_RSRC2:TRAP_HANDLER: 0
; COMPUTE_PGM_RSRC2:TGID_X_EN: 1
; COMPUTE_PGM_RSRC2:TGID_Y_EN: 0
; COMPUTE_PGM_RSRC2:TGID_Z_EN: 0
; COMPUTE_PGM_RSRC2:TIDIG_COMP_CNT: 0
; COMPUTE_PGM_RSRC3_GFX90A:ACCUM_OFFSET: 3
; COMPUTE_PGM_RSRC3_GFX90A:TG_SPLIT: 0
	.text
	.p2alignl 6, 3212836864
	.fill 256, 4, 3212836864
	.type	__hip_cuid_935047ae549b364,@object ; @__hip_cuid_935047ae549b364
	.section	.bss,"aw",@nobits
	.globl	__hip_cuid_935047ae549b364
__hip_cuid_935047ae549b364:
	.byte	0                               ; 0x0
	.size	__hip_cuid_935047ae549b364, 1

	.ident	"AMD clang version 19.0.0git (https://github.com/RadeonOpenCompute/llvm-project roc-6.4.0 25133 c7fe45cf4b819c5991fe208aaa96edf142730f1d)"
	.section	".note.GNU-stack","",@progbits
	.addrsig
	.addrsig_sym __hip_cuid_935047ae549b364
	.amdgpu_metadata
---
amdhsa.kernels:
  - .agpr_count:     0
    .args:
      - .address_space:  global
        .offset:         0
        .size:           8
        .value_kind:     global_buffer
      - .offset:         8
        .size:           4
        .value_kind:     by_value
      - .offset:         16
        .size:           4
        .value_kind:     hidden_block_count_x
      - .offset:         20
        .size:           4
        .value_kind:     hidden_block_count_y
      - .offset:         24
        .size:           4
        .value_kind:     hidden_block_count_z
      - .offset:         28
        .size:           2
        .value_kind:     hidden_group_size_x
      - .offset:         30
        .size:           2
        .value_kind:     hidden_group_size_y
      - .offset:         32
        .size:           2
        .value_kind:     hidden_group_size_z
      - .offset:         34
        .size:           2
        .value_kind:     hidden_remainder_x
      - .offset:         36
        .size:           2
        .value_kind:     hidden_remainder_y
      - .offset:         38
        .size:           2
        .value_kind:     hidden_remainder_z
      - .offset:         56
        .size:           8
        .value_kind:     hidden_global_offset_x
      - .offset:         64
        .size:           8
        .value_kind:     hidden_global_offset_y
      - .offset:         72
        .size:           8
        .value_kind:     hidden_global_offset_z
      - .offset:         80
        .size:           2
        .value_kind:     hidden_grid_dims
    .group_segment_fixed_size: 0
    .kernarg_segment_align: 8
    .kernarg_segment_size: 272
    .language:       OpenCL C
    .language_version:
      - 2
      - 0
    .max_flat_workgroup_size: 1024
    .name:           _Z9boxmullerPfi
    .private_segment_fixed_size: 0
    .sgpr_count:     33
    .sgpr_spill_count: 0
    .symbol:         _Z9boxmullerPfi.kd
    .uniform_work_group_size: 1
    .uses_dynamic_stack: false
    .vgpr_count:     35
    .vgpr_spill_count: 0
    .wavefront_size: 64
  - .agpr_count:     0
    .args:
      - .address_space:  global
        .offset:         0
        .size:           8
        .value_kind:     global_buffer
      - .address_space:  global
        .offset:         8
        .size:           8
        .value_kind:     global_buffer
      - .offset:         16
        .size:           4
        .value_kind:     by_value
      - .offset:         24
        .size:           4
        .value_kind:     hidden_block_count_x
      - .offset:         28
        .size:           4
        .value_kind:     hidden_block_count_y
      - .offset:         32
        .size:           4
        .value_kind:     hidden_block_count_z
      - .offset:         36
        .size:           2
        .value_kind:     hidden_group_size_x
      - .offset:         38
        .size:           2
        .value_kind:     hidden_group_size_y
      - .offset:         40
        .size:           2
        .value_kind:     hidden_group_size_z
      - .offset:         42
        .size:           2
        .value_kind:     hidden_remainder_x
      - .offset:         44
        .size:           2
        .value_kind:     hidden_remainder_y
      - .offset:         46
        .size:           2
        .value_kind:     hidden_remainder_z
      - .offset:         64
        .size:           8
        .value_kind:     hidden_global_offset_x
      - .offset:         72
        .size:           8
        .value_kind:     hidden_global_offset_y
      - .offset:         80
        .size:           8
        .value_kind:     hidden_global_offset_z
      - .offset:         88
        .size:           2
        .value_kind:     hidden_grid_dims
    .group_segment_fixed_size: 0
    .kernarg_segment_align: 8
    .kernarg_segment_size: 280
    .language:       OpenCL C
    .language_version:
      - 2
      - 0
    .max_flat_workgroup_size: 1024
    .name:           _Z2mtPK18mt_struct_strippedPfi
    .private_segment_fixed_size: 80
    .sgpr_count:     20
    .sgpr_spill_count: 0
    .symbol:         _Z2mtPK18mt_struct_strippedPfi.kd
    .uniform_work_group_size: 1
    .uses_dynamic_stack: false
    .vgpr_count:     13
    .vgpr_spill_count: 0
    .wavefront_size: 64
amdhsa.target:   amdgcn-amd-amdhsa--gfx90a
amdhsa.version:
  - 1
  - 2
...

	.end_amdgpu_metadata
